;; amdgpu-corpus repo=ROCm/rocFFT kind=compiled arch=gfx906 opt=O3
	.text
	.amdgcn_target "amdgcn-amd-amdhsa--gfx906"
	.amdhsa_code_object_version 6
	.protected	bluestein_single_back_len720_dim1_sp_op_CI_CI ; -- Begin function bluestein_single_back_len720_dim1_sp_op_CI_CI
	.globl	bluestein_single_back_len720_dim1_sp_op_CI_CI
	.p2align	8
	.type	bluestein_single_back_len720_dim1_sp_op_CI_CI,@function
bluestein_single_back_len720_dim1_sp_op_CI_CI: ; @bluestein_single_back_len720_dim1_sp_op_CI_CI
; %bb.0:
	s_load_dwordx4 s[0:3], s[4:5], 0x28
	v_mul_u32_u24_e32 v1, 0x223, v0
	v_lshrrev_b32_e32 v1, 16, v1
	v_lshl_add_u32 v52, s6, 1, v1
	v_mov_b32_e32 v53, 0
	s_waitcnt lgkmcnt(0)
	v_cmp_gt_u64_e32 vcc, s[0:1], v[52:53]
	s_and_saveexec_b64 s[0:1], vcc
	s_cbranch_execz .LBB0_23
; %bb.1:
	s_load_dwordx2 s[14:15], s[4:5], 0x0
	s_load_dwordx2 s[12:13], s[4:5], 0x38
	v_mul_lo_u16_e32 v2, 0x78, v1
	v_sub_u16_e32 v55, v0, v2
	v_and_b32_e32 v0, 1, v1
	v_mov_b32_e32 v1, 0x2d0
	v_cmp_eq_u32_e32 vcc, 1, v0
	v_cndmask_b32_e32 v57, 0, v1, vcc
	s_movk_i32 s0, 0x48
	v_cmp_gt_u16_e64 s[0:1], s0, v55
	v_lshlrev_b32_e32 v56, 3, v55
	v_lshlrev_b32_e32 v58, 3, v57
	s_and_saveexec_b64 s[6:7], s[0:1]
	s_cbranch_execz .LBB0_3
; %bb.2:
	s_load_dwordx2 s[8:9], s[4:5], 0x18
	s_waitcnt lgkmcnt(0)
	v_mov_b32_e32 v20, s15
	s_load_dwordx4 s[8:11], s[8:9], 0x0
	s_waitcnt lgkmcnt(0)
	v_mad_u64_u32 v[0:1], s[16:17], s10, v52, 0
	v_mad_u64_u32 v[2:3], s[16:17], s8, v55, 0
	;; [unrolled: 1-line block ×4, first 2 shown]
	v_mov_b32_e32 v1, v4
	v_lshlrev_b64 v[0:1], 3, v[0:1]
	v_mov_b32_e32 v3, v5
	v_mov_b32_e32 v6, s3
	v_lshlrev_b64 v[2:3], 3, v[2:3]
	v_add_co_u32_e32 v0, vcc, s2, v0
	v_addc_co_u32_e32 v1, vcc, v6, v1, vcc
	v_add_co_u32_e32 v0, vcc, v0, v2
	v_addc_co_u32_e32 v1, vcc, v1, v3, vcc
	v_add_co_u32_e32 v21, vcc, s14, v56
	s_movk_i32 s2, 0x1000
	v_addc_co_u32_e32 v22, vcc, 0, v20, vcc
	v_add_co_u32_e32 v20, vcc, s2, v21
	s_mul_i32 s2, s9, 0x240
	s_mul_hi_u32 s3, s8, 0x240
	v_addc_co_u32_e32 v21, vcc, 0, v22, vcc
	s_mulk_i32 s8, 0x240
	s_add_i32 s2, s3, s2
	global_load_dwordx2 v[2:3], v[0:1], off
	v_mov_b32_e32 v22, s2
	v_add_co_u32_e32 v0, vcc, s8, v0
	v_addc_co_u32_e32 v1, vcc, v1, v22, vcc
	global_load_dwordx2 v[4:5], v56, s[14:15]
	global_load_dwordx2 v[6:7], v56, s[14:15] offset:576
	global_load_dwordx2 v[8:9], v56, s[14:15] offset:1152
	;; [unrolled: 1-line block ×7, first 2 shown]
	v_mov_b32_e32 v24, s2
	global_load_dwordx2 v[22:23], v[0:1], off
	v_add_co_u32_e32 v0, vcc, s8, v0
	v_addc_co_u32_e32 v1, vcc, v1, v24, vcc
	v_mov_b32_e32 v26, s2
	global_load_dwordx2 v[24:25], v[0:1], off
	v_add_co_u32_e32 v0, vcc, s8, v0
	v_addc_co_u32_e32 v1, vcc, v1, v26, vcc
	;; [unrolled: 4-line block ×7, first 2 shown]
	global_load_dwordx2 v[36:37], v[0:1], off
	global_load_dwordx2 v[38:39], v[20:21], off offset:512
	v_mov_b32_e32 v40, s2
	v_add_co_u32_e32 v0, vcc, s8, v0
	v_addc_co_u32_e32 v1, vcc, v1, v40, vcc
	global_load_dwordx2 v[40:41], v[20:21], off offset:1088
	global_load_dwordx2 v[42:43], v[0:1], off
	s_waitcnt vmcnt(18)
	v_mul_f32_e32 v0, v2, v5
	v_fma_f32 v1, v3, v4, -v0
	v_mul_f32_e32 v0, v3, v5
	v_fmac_f32_e32 v0, v2, v4
	v_lshl_add_u32 v2, v55, 3, v58
	ds_write_b64 v2, v[0:1]
	v_add_u32_e32 v4, v58, v56
	v_add_u32_e32 v5, 0x400, v4
	s_waitcnt vmcnt(10)
	v_mul_f32_e32 v0, v23, v7
	v_mul_f32_e32 v1, v22, v7
	v_fmac_f32_e32 v0, v22, v6
	v_fma_f32 v1, v23, v6, -v1
	s_waitcnt vmcnt(9)
	v_mul_f32_e32 v2, v25, v9
	v_mul_f32_e32 v3, v24, v9
	v_fmac_f32_e32 v2, v24, v8
	v_fma_f32 v3, v25, v8, -v3
	ds_write2_b64 v4, v[0:1], v[2:3] offset0:72 offset1:144
	s_waitcnt vmcnt(8)
	v_mul_f32_e32 v0, v27, v11
	v_mul_f32_e32 v1, v26, v11
	v_fmac_f32_e32 v0, v26, v10
	v_fma_f32 v1, v27, v10, -v1
	s_waitcnt vmcnt(7)
	v_mul_f32_e32 v2, v29, v13
	v_mul_f32_e32 v3, v28, v13
	v_fmac_f32_e32 v2, v28, v12
	v_fma_f32 v3, v29, v12, -v3
	ds_write2_b64 v5, v[0:1], v[2:3] offset0:88 offset1:160
	v_add_u32_e32 v5, 0x800, v4
	s_waitcnt vmcnt(6)
	v_mul_f32_e32 v0, v31, v15
	v_mul_f32_e32 v1, v30, v15
	v_fmac_f32_e32 v0, v30, v14
	v_fma_f32 v1, v31, v14, -v1
	s_waitcnt vmcnt(5)
	v_mul_f32_e32 v2, v33, v17
	v_mul_f32_e32 v3, v32, v17
	v_fmac_f32_e32 v2, v32, v16
	v_fma_f32 v3, v33, v16, -v3
	ds_write2_b64 v5, v[0:1], v[2:3] offset0:104 offset1:176
	v_add_u32_e32 v5, 0xc00, v4
	s_waitcnt vmcnt(4)
	v_mul_f32_e32 v0, v35, v19
	v_mul_f32_e32 v1, v34, v19
	v_fmac_f32_e32 v0, v34, v18
	v_fma_f32 v1, v35, v18, -v1
	s_waitcnt vmcnt(2)
	v_mul_f32_e32 v2, v37, v39
	v_mul_f32_e32 v3, v36, v39
	v_fmac_f32_e32 v2, v36, v38
	v_fma_f32 v3, v37, v38, -v3
	ds_write2_b64 v5, v[0:1], v[2:3] offset0:120 offset1:192
	s_waitcnt vmcnt(0)
	v_mul_f32_e32 v0, v43, v41
	v_mul_f32_e32 v1, v42, v41
	v_fmac_f32_e32 v0, v42, v40
	v_fma_f32 v1, v43, v40, -v1
	ds_write_b64 v4, v[0:1] offset:5184
.LBB0_3:
	s_or_b64 exec, exec, s[6:7]
	s_load_dwordx2 s[2:3], s[4:5], 0x20
	s_load_dwordx2 s[8:9], s[4:5], 0x8
	s_waitcnt lgkmcnt(0)
	s_barrier
	s_waitcnt lgkmcnt(0)
                                        ; implicit-def: $vgpr14
                                        ; implicit-def: $vgpr20
                                        ; implicit-def: $vgpr18
                                        ; implicit-def: $vgpr10
                                        ; implicit-def: $vgpr6
	s_and_saveexec_b64 s[4:5], s[0:1]
	s_cbranch_execz .LBB0_5
; %bb.4:
	v_lshl_add_u32 v0, v57, 3, v56
	ds_read2_b64 v[4:7], v0 offset1:72
	ds_read2_b64 v[8:11], v0 offset0:144 offset1:216
	v_add_u32_e32 v1, 0x800, v0
	v_add_u32_e32 v0, 0x1000, v0
	ds_read2_b64 v[16:19], v1 offset0:32 offset1:104
	ds_read2_b64 v[12:15], v1 offset0:176 offset1:248
	ds_read2_b64 v[20:23], v0 offset0:64 offset1:136
.LBB0_5:
	s_or_b64 exec, exec, s[4:5]
	s_waitcnt lgkmcnt(1)
	v_add_f32_e32 v0, v12, v16
	v_fma_f32 v29, -0.5, v0, v4
	s_waitcnt lgkmcnt(0)
	v_sub_f32_e32 v0, v9, v21
	v_mov_b32_e32 v28, v29
	v_fmac_f32_e32 v28, 0x3f737871, v0
	v_sub_f32_e32 v1, v17, v13
	v_sub_f32_e32 v2, v8, v16
	;; [unrolled: 1-line block ×3, first 2 shown]
	v_fmac_f32_e32 v29, 0xbf737871, v0
	v_fmac_f32_e32 v28, 0x3f167918, v1
	v_add_f32_e32 v2, v3, v2
	v_fmac_f32_e32 v29, 0xbf167918, v1
	v_fmac_f32_e32 v28, 0x3e9e377a, v2
	;; [unrolled: 1-line block ×3, first 2 shown]
	v_add_f32_e32 v2, v20, v8
	v_fma_f32 v31, -0.5, v2, v4
	v_mov_b32_e32 v30, v31
	v_fmac_f32_e32 v30, 0xbf737871, v1
	v_fmac_f32_e32 v31, 0x3f737871, v1
	;; [unrolled: 1-line block ×4, first 2 shown]
	v_add_f32_e32 v0, v13, v17
	v_sub_f32_e32 v2, v16, v8
	v_sub_f32_e32 v3, v12, v20
	v_fma_f32 v33, -0.5, v0, v5
	v_add_f32_e32 v2, v3, v2
	v_sub_f32_e32 v0, v8, v20
	v_mov_b32_e32 v32, v33
	v_fmac_f32_e32 v30, 0x3e9e377a, v2
	v_fmac_f32_e32 v31, 0x3e9e377a, v2
	;; [unrolled: 1-line block ×3, first 2 shown]
	v_sub_f32_e32 v1, v16, v12
	v_sub_f32_e32 v2, v9, v17
	;; [unrolled: 1-line block ×3, first 2 shown]
	v_fmac_f32_e32 v33, 0x3f737871, v0
	v_fmac_f32_e32 v32, 0xbf167918, v1
	v_add_f32_e32 v2, v3, v2
	v_fmac_f32_e32 v33, 0x3f167918, v1
	v_fmac_f32_e32 v32, 0x3e9e377a, v2
	;; [unrolled: 1-line block ×3, first 2 shown]
	v_add_f32_e32 v2, v21, v9
	v_fma_f32 v35, -0.5, v2, v5
	v_mov_b32_e32 v34, v35
	v_fmac_f32_e32 v34, 0x3f737871, v1
	v_fmac_f32_e32 v35, 0xbf737871, v1
	;; [unrolled: 1-line block ×3, first 2 shown]
	v_sub_f32_e32 v2, v17, v9
	v_sub_f32_e32 v3, v13, v21
	v_fmac_f32_e32 v35, 0x3f167918, v0
	v_add_f32_e32 v0, v14, v18
	v_add_f32_e32 v2, v3, v2
	v_fma_f32 v0, -0.5, v0, v6
	v_fmac_f32_e32 v34, 0x3e9e377a, v2
	v_fmac_f32_e32 v35, 0x3e9e377a, v2
	v_sub_f32_e32 v1, v11, v23
	v_mov_b32_e32 v2, v0
	v_fmac_f32_e32 v2, 0x3f737871, v1
	v_sub_f32_e32 v3, v19, v15
	v_sub_f32_e32 v24, v10, v18
	;; [unrolled: 1-line block ×3, first 2 shown]
	v_fmac_f32_e32 v0, 0xbf737871, v1
	v_fmac_f32_e32 v2, 0x3f167918, v3
	v_add_f32_e32 v24, v25, v24
	v_fmac_f32_e32 v0, 0xbf167918, v3
	v_fmac_f32_e32 v2, 0x3e9e377a, v24
	;; [unrolled: 1-line block ×3, first 2 shown]
	v_add_f32_e32 v24, v22, v10
	v_fma_f32 v24, -0.5, v24, v6
	v_mov_b32_e32 v25, v24
	v_fmac_f32_e32 v25, 0xbf737871, v3
	v_fmac_f32_e32 v24, 0x3f737871, v3
	;; [unrolled: 1-line block ×3, first 2 shown]
	v_sub_f32_e32 v26, v18, v10
	v_sub_f32_e32 v27, v14, v22
	v_fmac_f32_e32 v24, 0xbf167918, v1
	v_add_f32_e32 v1, v15, v19
	v_add_f32_e32 v26, v27, v26
	v_fma_f32 v1, -0.5, v1, v7
	v_fmac_f32_e32 v25, 0x3e9e377a, v26
	v_fmac_f32_e32 v24, 0x3e9e377a, v26
	v_sub_f32_e32 v3, v10, v22
	v_mov_b32_e32 v26, v1
	v_fmac_f32_e32 v26, 0xbf737871, v3
	v_sub_f32_e32 v27, v18, v14
	v_sub_f32_e32 v36, v11, v19
	;; [unrolled: 1-line block ×3, first 2 shown]
	v_fmac_f32_e32 v1, 0x3f737871, v3
	v_fmac_f32_e32 v26, 0xbf167918, v27
	v_add_f32_e32 v36, v37, v36
	v_fmac_f32_e32 v1, 0x3f167918, v27
	v_fmac_f32_e32 v26, 0x3e9e377a, v36
	;; [unrolled: 1-line block ×3, first 2 shown]
	v_add_f32_e32 v36, v23, v11
	v_fma_f32 v42, -0.5, v36, v7
	v_mov_b32_e32 v43, v42
	v_sub_f32_e32 v36, v19, v11
	v_sub_f32_e32 v37, v15, v23
	v_fmac_f32_e32 v42, 0xbf737871, v27
	v_fmac_f32_e32 v43, 0x3f737871, v27
	v_add_f32_e32 v36, v37, v36
	v_fmac_f32_e32 v42, 0x3f167918, v3
	s_mov_b32 s4, 0x3f737871
	v_fmac_f32_e32 v43, 0xbf167918, v3
	v_fmac_f32_e32 v42, 0x3e9e377a, v36
	v_mul_f32_e32 v3, 0x3e9e377a, v24
	s_mov_b32 s5, 0x3f167918
	v_fmac_f32_e32 v43, 0x3e9e377a, v36
	v_mul_f32_e32 v36, 0x3f167918, v26
	v_fma_f32 v38, v42, s4, -v3
	v_mul_f32_e32 v3, 0x3f4f1bbd, v0
	s_mov_b32 s6, 0xbf737871
	s_mov_b32 s7, 0xbf167918
	v_fmac_f32_e32 v36, 0x3f4f1bbd, v2
	v_mul_f32_e32 v37, 0x3f737871, v43
	v_fma_f32 v39, v1, s5, -v3
	v_mul_f32_e32 v40, 0xbf167918, v2
	v_mul_f32_e32 v41, 0xbf737871, v25
	;; [unrolled: 1-line block ×4, first 2 shown]
	v_fmac_f32_e32 v37, 0x3e9e377a, v25
	v_fmac_f32_e32 v40, 0x3f4f1bbd, v26
	;; [unrolled: 1-line block ×3, first 2 shown]
	v_fma_f32 v42, v24, s6, -v2
	v_fma_f32 v43, v0, s7, -v1
	v_sub_f32_e32 v24, v28, v36
	v_sub_f32_e32 v26, v30, v37
	;; [unrolled: 1-line block ×8, first 2 shown]
	v_mul_lo_u16_e32 v60, 10, v55
	s_barrier
	s_and_saveexec_b64 s[4:5], s[0:1]
	s_cbranch_execz .LBB0_7
; %bb.6:
	v_add_f32_e32 v5, v9, v5
	v_add_f32_e32 v4, v8, v4
	;; [unrolled: 1-line block ×16, first 2 shown]
	v_sub_f32_e32 v7, v13, v17
	v_sub_f32_e32 v6, v12, v16
	v_add_f32_e32 v15, v32, v40
	v_add_f32_e32 v13, v17, v13
	;; [unrolled: 1-line block ×4, first 2 shown]
	v_add_lshl_u32 v16, v57, v60, 3
	v_add_f32_e32 v5, v33, v43
	v_add_f32_e32 v11, v35, v42
	;; [unrolled: 1-line block ×6, first 2 shown]
	ds_write_b128 v16, v[12:15]
	ds_write_b128 v16, v[8:11] offset:16
	ds_write_b128 v16, v[4:7] offset:32
	;; [unrolled: 1-line block ×4, first 2 shown]
.LBB0_7:
	s_or_b64 exec, exec, s[4:5]
	s_load_dwordx4 s[4:7], s[2:3], 0x0
	s_movk_i32 s2, 0xcd
	v_mul_lo_u16_sdwa v4, v55, s2 dst_sel:DWORD dst_unused:UNUSED_PAD src0_sel:BYTE_0 src1_sel:DWORD
	v_lshrrev_b16_e32 v21, 11, v4
	v_add_co_u32_e32 v40, vcc, 0x78, v55
	v_mul_lo_u16_e32 v4, 10, v21
	v_sub_u16_e32 v22, v55, v4
	v_mov_b32_e32 v4, 4
	v_mul_lo_u16_sdwa v6, v40, s2 dst_sel:DWORD dst_unused:UNUSED_PAD src0_sel:BYTE_0 src1_sel:DWORD
	v_lshlrev_b32_sdwa v5, v4, v22 dst_sel:DWORD dst_unused:UNUSED_PAD src0_sel:DWORD src1_sel:BYTE_0
	v_lshrrev_b16_e32 v23, 11, v6
	s_waitcnt lgkmcnt(0)
	s_barrier
	global_load_dwordx4 v[8:11], v5, s[8:9]
	v_mul_lo_u16_e32 v5, 10, v23
	v_sub_u16_e32 v32, v40, v5
	v_lshlrev_b32_sdwa v4, v4, v32 dst_sel:DWORD dst_unused:UNUSED_PAD src0_sel:DWORD src1_sel:BYTE_0
	global_load_dwordx4 v[4:7], v4, s[8:9]
	v_add_lshl_u32 v59, v57, v55, 3
	v_add_u32_e32 v12, 0x400, v59
	v_add_u32_e32 v17, 0xc00, v59
	ds_read2_b64 v[28:31], v59 offset1:120
	ds_read2_b64 v[13:16], v12 offset0:112 offset1:232
	ds_read2_b64 v[17:20], v17 offset0:96 offset1:216
	v_mul_u32_u24_e32 v21, 30, v21
	v_mul_u32_u24_e32 v23, 30, v23
	v_add_u32_sdwa v21, v21, v22 dst_sel:DWORD dst_unused:UNUSED_PAD src0_sel:DWORD src1_sel:BYTE_0
	v_add_u32_sdwa v22, v23, v32 dst_sel:DWORD dst_unused:UNUSED_PAD src0_sel:DWORD src1_sel:BYTE_0
	v_add_lshl_u32 v65, v57, v21, 3
	v_add_lshl_u32 v64, v57, v22, 3
	v_addc_co_u32_e64 v41, s[2:3], 0, 0, vcc
	s_movk_i32 s2, 0x5a
	v_cmp_gt_u16_e64 s[2:3], s2, v55
	s_waitcnt vmcnt(0) lgkmcnt(0)
	s_barrier
	v_mul_f32_e32 v21, v14, v9
	v_mul_f32_e32 v22, v13, v9
	v_mul_f32_e32 v23, v18, v11
	v_mul_f32_e32 v33, v17, v11
	v_mul_f32_e32 v32, v16, v5
	v_mul_f32_e32 v34, v15, v5
	v_mul_f32_e32 v35, v20, v7
	v_mul_f32_e32 v39, v19, v7
	v_fma_f32 v13, v13, v8, -v21
	v_fmac_f32_e32 v22, v14, v8
	v_fma_f32 v14, v17, v10, -v23
	v_fmac_f32_e32 v33, v18, v10
	;; [unrolled: 2-line block ×4, first 2 shown]
	v_add_f32_e32 v18, v13, v14
	v_add_f32_e32 v21, v22, v33
	;; [unrolled: 1-line block ×3, first 2 shown]
	v_sub_f32_e32 v42, v34, v39
	v_add_f32_e32 v35, v31, v34
	v_add_f32_e32 v34, v34, v39
	v_sub_f32_e32 v19, v22, v33
	v_add_f32_e32 v20, v29, v22
	v_add_f32_e32 v22, v30, v15
	v_fma_f32 v36, -0.5, v18, v28
	v_fma_f32 v37, -0.5, v21, v29
	;; [unrolled: 1-line block ×3, first 2 shown]
	v_fmac_f32_e32 v31, -0.5, v34
	v_add_f32_e32 v17, v28, v13
	v_sub_f32_e32 v13, v13, v14
	v_sub_f32_e32 v15, v15, v16
	v_add_f32_e32 v39, v35, v39
	v_mov_b32_e32 v34, v36
	v_mov_b32_e32 v35, v37
	;; [unrolled: 1-line block ×4, first 2 shown]
	v_add_f32_e32 v32, v17, v14
	v_add_f32_e32 v33, v20, v33
	;; [unrolled: 1-line block ×3, first 2 shown]
	v_fmac_f32_e32 v36, 0xbf5db3d7, v19
	v_fmac_f32_e32 v37, 0x3f5db3d7, v13
	;; [unrolled: 1-line block ×8, first 2 shown]
	ds_write_b64 v65, v[36:37] offset:160
	ds_write2_b64 v65, v[32:33], v[34:35] offset1:10
	ds_write2_b64 v64, v[38:39], v[28:29] offset1:10
	ds_write_b64 v64, v[30:31] offset:160
	s_waitcnt lgkmcnt(0)
	s_barrier
	s_and_saveexec_b64 s[10:11], s[2:3]
	s_cbranch_execz .LBB0_9
; %bb.8:
	ds_read2_b64 v[32:35], v59 offset1:90
	ds_read2_b64 v[36:39], v12 offset0:52 offset1:142
	v_add_u32_e32 v12, 0x800, v59
	ds_read2_b64 v[28:31], v12 offset0:104 offset1:194
	v_add_u32_e32 v12, 0x1000, v59
	ds_read2_b64 v[24:27], v12 offset0:28 offset1:118
.LBB0_9:
	s_or_b64 exec, exec, s[10:11]
	s_movk_i32 s10, 0x89
	v_mul_lo_u16_sdwa v12, v55, s10 dst_sel:DWORD dst_unused:UNUSED_PAD src0_sel:BYTE_0 src1_sel:DWORD
	v_lshrrev_b16_e32 v61, 12, v12
	v_mul_lo_u16_e32 v12, 30, v61
	v_sub_u16_e32 v12, v55, v12
	v_and_b32_e32 v62, 0xff, v12
	v_mad_u64_u32 v[42:43], s[10:11], v62, 56, s[8:9]
	global_load_dwordx2 v[53:54], v[42:43], off offset:208
	global_load_dwordx4 v[16:19], v[42:43], off offset:192
	global_load_dwordx4 v[12:15], v[42:43], off offset:176
	;; [unrolled: 1-line block ×3, first 2 shown]
	s_waitcnt vmcnt(0) lgkmcnt(0)
	s_barrier
	v_mul_f32_e32 v46, v26, v54
	v_mul_f32_e32 v44, v24, v19
	v_fmac_f32_e32 v44, v25, v18
	v_mul_f32_e32 v42, v35, v21
	v_fma_f32 v42, v34, v20, -v42
	v_mul_f32_e32 v34, v34, v21
	v_fmac_f32_e32 v34, v35, v20
	v_mul_f32_e32 v35, v37, v23
	v_fma_f32 v35, v36, v22, -v35
	;; [unrolled: 4-line block ×3, first 2 shown]
	v_mul_f32_e32 v37, v29, v15
	v_fma_f32 v37, v28, v14, -v37
	v_mul_f32_e32 v28, v28, v15
	v_mul_f32_e32 v38, v38, v13
	v_fmac_f32_e32 v28, v29, v14
	v_mul_f32_e32 v29, v31, v17
	v_fmac_f32_e32 v38, v39, v12
	v_fma_f32 v29, v30, v16, -v29
	v_mul_f32_e32 v39, v30, v17
	v_mul_f32_e32 v30, v25, v19
	v_fmac_f32_e32 v39, v31, v16
	v_fma_f32 v31, v24, v18, -v30
	v_mul_f32_e32 v24, v27, v54
	v_fma_f32 v45, v26, v53, -v24
	v_fmac_f32_e32 v46, v27, v53
	v_sub_f32_e32 v27, v32, v37
	v_sub_f32_e32 v39, v34, v39
	;; [unrolled: 1-line block ×3, first 2 shown]
	v_fma_f32 v24, v32, 2.0, -v27
	v_sub_f32_e32 v31, v35, v31
	v_sub_f32_e32 v32, v36, v44
	;; [unrolled: 1-line block ×3, first 2 shown]
	v_fma_f32 v28, v34, 2.0, -v39
	v_sub_f32_e32 v34, v43, v45
	v_fma_f32 v25, v33, 2.0, -v30
	v_fma_f32 v33, v35, 2.0, -v31
	;; [unrolled: 1-line block ×4, first 2 shown]
	v_sub_f32_e32 v45, v38, v46
	v_fma_f32 v43, v43, 2.0, -v34
	v_sub_f32_e32 v42, v27, v32
	v_add_f32_e32 v44, v30, v31
	v_fma_f32 v38, v38, 2.0, -v45
	v_sub_f32_e32 v36, v25, v35
	v_sub_f32_e32 v31, v26, v43
	;; [unrolled: 1-line block ×3, first 2 shown]
	v_add_f32_e32 v45, v39, v34
	v_mov_b32_e32 v34, v42
	v_mov_b32_e32 v35, v44
	v_sub_f32_e32 v29, v24, v33
	v_sub_f32_e32 v38, v28, v38
	v_fmac_f32_e32 v34, 0x3f3504f3, v43
	v_fmac_f32_e32 v35, 0x3f3504f3, v45
	v_sub_f32_e32 v32, v29, v38
	v_add_f32_e32 v33, v36, v31
	v_fmac_f32_e32 v34, 0xbf3504f3, v45
	v_fmac_f32_e32 v35, 0x3f3504f3, v43
	s_and_saveexec_b64 s[10:11], s[2:3]
	s_cbranch_execz .LBB0_11
; %bb.10:
	v_fma_f32 v27, v27, 2.0, -v42
	v_fma_f32 v37, v37, 2.0, -v43
	v_mov_b32_e32 v43, v27
	v_fma_f32 v39, v39, 2.0, -v45
	v_fmac_f32_e32 v43, 0xbf3504f3, v37
	v_fmac_f32_e32 v43, 0xbf3504f3, v39
	v_fma_f32 v30, v30, 2.0, -v44
	v_fma_f32 v50, v27, 2.0, -v43
	;; [unrolled: 1-line block ×7, first 2 shown]
	v_mov_b32_e32 v44, v30
	v_sub_f32_e32 v24, v28, v24
	v_fmac_f32_e32 v44, 0xbf3504f3, v39
	v_fma_f32 v26, v28, 2.0, -v24
	v_mul_u32_u24_e32 v28, 0xf0, v61
	v_fmac_f32_e32 v44, 0x3f3504f3, v37
	v_sub_f32_e32 v25, v27, v25
	v_add_u32_e32 v28, v28, v62
	v_fma_f32 v51, v30, 2.0, -v44
	v_fma_f32 v27, v27, 2.0, -v25
	v_add_lshl_u32 v28, v57, v28, 3
	v_fma_f32 v46, v42, 2.0, -v34
	v_fma_f32 v49, v36, 2.0, -v33
	;; [unrolled: 1-line block ×3, first 2 shown]
	ds_write2_b64 v28, v[26:27], v[50:51] offset1:30
	ds_write2_b64 v28, v[48:49], v[46:47] offset0:60 offset1:90
	ds_write2_b64 v28, v[24:25], v[43:44] offset0:120 offset1:150
	;; [unrolled: 1-line block ×3, first 2 shown]
.LBB0_11:
	s_or_b64 exec, exec, s[10:11]
	v_lshlrev_b64 v[28:29], 4, v[40:41]
	v_lshlrev_b32_e32 v24, 4, v55
	v_mov_b32_e32 v30, s9
	v_add_co_u32_e32 v28, vcc, s8, v28
	s_waitcnt lgkmcnt(0)
	s_barrier
	global_load_dwordx4 v[24:27], v24, s[8:9] offset:1840
	v_addc_co_u32_e32 v29, vcc, v30, v29, vcc
	global_load_dwordx4 v[28:31], v[28:29], off offset:1840
	v_add_u32_e32 v40, 0x400, v59
	v_add_u32_e32 v44, 0xc00, v59
	ds_read2_b64 v[40:43], v40 offset0:112 offset1:232
	ds_read2_b64 v[44:47], v44 offset0:96 offset1:216
	ds_read2_b64 v[36:39], v59 offset1:120
	v_lshl_add_u32 v63, v55, 3, v58
	v_add_u32_e32 v66, v56, v58
	v_add_u32_e32 v48, 0x780, v63
	;; [unrolled: 1-line block ×3, first 2 shown]
	s_waitcnt vmcnt(1) lgkmcnt(2)
	v_mul_f32_e32 v50, v41, v25
	v_mul_f32_e32 v51, v40, v25
	s_waitcnt lgkmcnt(1)
	v_mul_f32_e32 v67, v45, v27
	v_mul_f32_e32 v68, v44, v27
	v_fma_f32 v40, v40, v24, -v50
	v_fmac_f32_e32 v51, v41, v24
	v_fma_f32 v41, v44, v26, -v67
	v_fmac_f32_e32 v68, v45, v26
	s_waitcnt vmcnt(0)
	v_mul_f32_e32 v44, v43, v29
	v_mul_f32_e32 v50, v42, v29
	;; [unrolled: 1-line block ×4, first 2 shown]
	v_sub_f32_e32 v71, v51, v68
	s_waitcnt lgkmcnt(0)
	v_add_f32_e32 v72, v37, v51
	v_add_f32_e32 v51, v51, v68
	v_fma_f32 v74, v42, v28, -v44
	v_fmac_f32_e32 v50, v43, v28
	v_fma_f32 v46, v46, v30, -v45
	v_fmac_f32_e32 v67, v47, v30
	v_add_f32_e32 v70, v40, v41
	v_fma_f32 v45, -0.5, v51, v37
	v_add_f32_e32 v37, v74, v46
	v_sub_f32_e32 v51, v50, v67
	v_add_f32_e32 v47, v39, v50
	v_add_f32_e32 v50, v50, v67
	v_add_f32_e32 v69, v36, v40
	v_fma_f32 v44, -0.5, v70, v36
	v_add_f32_e32 v36, v38, v74
	v_fma_f32 v38, -0.5, v37, v38
	v_fmac_f32_e32 v39, -0.5, v50
	v_sub_f32_e32 v73, v40, v41
	v_add_f32_e32 v40, v69, v41
	v_add_f32_e32 v41, v72, v68
	v_mov_b32_e32 v42, v44
	v_mov_b32_e32 v43, v45
	v_sub_f32_e32 v68, v74, v46
	v_add_f32_e32 v46, v36, v46
	v_mov_b32_e32 v36, v38
	v_mov_b32_e32 v37, v39
	v_fmac_f32_e32 v44, 0xbf5db3d7, v71
	v_fmac_f32_e32 v45, 0x3f5db3d7, v73
	;; [unrolled: 1-line block ×4, first 2 shown]
	v_add_f32_e32 v47, v47, v67
	v_fmac_f32_e32 v38, 0xbf5db3d7, v51
	v_fmac_f32_e32 v39, 0x3f5db3d7, v68
	;; [unrolled: 1-line block ×4, first 2 shown]
	ds_write2_b64 v48, v[42:43], v[44:45] offset1:240
	ds_write2_b64 v63, v[40:41], v[46:47] offset1:120
	ds_write2_b64 v49, v[36:37], v[38:39] offset0:8 offset1:248
	s_waitcnt lgkmcnt(0)
	s_barrier
	s_and_saveexec_b64 s[8:9], s[0:1]
	s_cbranch_execz .LBB0_13
; %bb.12:
	v_add_co_u32_e32 v73, vcc, s14, v56
	v_mov_b32_e32 v48, s15
	v_addc_co_u32_e32 v74, vcc, 0, v48, vcc
	v_add_co_u32_e32 v67, vcc, 0x1680, v73
	v_addc_co_u32_e32 v68, vcc, 0, v74, vcc
	v_add_co_u32_e32 v69, vcc, 0x1000, v73
	v_addc_co_u32_e32 v70, vcc, 0, v74, vcc
	global_load_dwordx2 v[69:70], v[69:70], off offset:1664
	ds_read2_b64 v[48:51], v63 offset1:72
	v_add_u32_e32 v75, 0x800, v63
	s_movk_i32 s10, 0x2000
	s_waitcnt vmcnt(0) lgkmcnt(0)
	v_mul_f32_e32 v71, v49, v70
	v_mul_f32_e32 v72, v48, v70
	v_fma_f32 v71, v48, v69, -v71
	v_fmac_f32_e32 v72, v49, v69
	global_load_dwordx2 v[48:49], v[67:68], off offset:576
	s_waitcnt vmcnt(0)
	v_mul_f32_e32 v69, v51, v49
	v_mul_f32_e32 v70, v50, v49
	v_fma_f32 v69, v50, v48, -v69
	v_fmac_f32_e32 v70, v51, v48
	ds_write2_b64 v63, v[71:72], v[69:70] offset1:72
	global_load_dwordx2 v[69:70], v[67:68], off offset:1152
	ds_read2_b64 v[48:51], v63 offset0:144 offset1:216
	s_waitcnt vmcnt(0) lgkmcnt(0)
	v_mul_f32_e32 v71, v49, v70
	v_mul_f32_e32 v72, v48, v70
	v_fma_f32 v71, v48, v69, -v71
	v_fmac_f32_e32 v72, v49, v69
	global_load_dwordx2 v[48:49], v[67:68], off offset:1728
	s_waitcnt vmcnt(0)
	v_mul_f32_e32 v69, v51, v49
	v_mul_f32_e32 v70, v50, v49
	v_fma_f32 v69, v50, v48, -v69
	v_fmac_f32_e32 v70, v51, v48
	ds_write2_b64 v63, v[71:72], v[69:70] offset0:144 offset1:216
	global_load_dwordx2 v[69:70], v[67:68], off offset:2304
	ds_read2_b64 v[48:51], v75 offset0:32 offset1:104
	s_waitcnt vmcnt(0) lgkmcnt(0)
	v_mul_f32_e32 v71, v49, v70
	v_mul_f32_e32 v72, v48, v70
	v_fma_f32 v71, v48, v69, -v71
	v_fmac_f32_e32 v72, v49, v69
	global_load_dwordx2 v[48:49], v[67:68], off offset:2880
	s_waitcnt vmcnt(0)
	v_mul_f32_e32 v69, v51, v49
	v_mul_f32_e32 v70, v50, v49
	v_fma_f32 v69, v50, v48, -v69
	v_fmac_f32_e32 v70, v51, v48
	ds_write2_b64 v75, v[71:72], v[69:70] offset0:32 offset1:104
	;; [unrolled: 14-line block ×3, first 2 shown]
	v_add_co_u32_e32 v67, vcc, s10, v73
	v_addc_co_u32_e32 v68, vcc, 0, v74, vcc
	global_load_dwordx2 v[69:70], v[67:68], off offset:2176
	v_add_u32_e32 v75, 0x1000, v63
	ds_read2_b64 v[48:51], v75 offset0:64 offset1:136
	s_waitcnt vmcnt(0) lgkmcnt(0)
	v_mul_f32_e32 v71, v49, v70
	v_mul_f32_e32 v72, v48, v70
	v_fma_f32 v71, v48, v69, -v71
	v_fmac_f32_e32 v72, v49, v69
	global_load_dwordx2 v[48:49], v[67:68], off offset:2752
	s_waitcnt vmcnt(0)
	v_mul_f32_e32 v67, v51, v49
	v_mul_f32_e32 v68, v50, v49
	v_fma_f32 v67, v50, v48, -v67
	v_fmac_f32_e32 v68, v51, v48
	ds_write2_b64 v75, v[71:72], v[67:68] offset0:64 offset1:136
.LBB0_13:
	s_or_b64 exec, exec, s[8:9]
	s_waitcnt lgkmcnt(0)
	s_barrier
	s_and_saveexec_b64 s[8:9], s[0:1]
	s_cbranch_execz .LBB0_15
; %bb.14:
	v_add_u32_e32 v0, 0x800, v63
	ds_read2_b64 v[40:43], v63 offset1:72
	ds_read2_b64 v[44:47], v63 offset0:144 offset1:216
	ds_read2_b64 v[36:39], v0 offset0:32 offset1:104
	;; [unrolled: 1-line block ×3, first 2 shown]
	v_add_u32_e32 v0, 0x1000, v63
	ds_read2_b64 v[0:3], v0 offset0:64 offset1:136
.LBB0_15:
	s_or_b64 exec, exec, s[8:9]
	s_waitcnt lgkmcnt(1)
	v_add_f32_e32 v48, v32, v36
	v_fma_f32 v69, -0.5, v48, v40
	v_sub_f32_e32 v48, v44, v36
	s_waitcnt lgkmcnt(0)
	v_sub_f32_e32 v49, v0, v32
	v_add_f32_e32 v78, v49, v48
	v_add_f32_e32 v48, v0, v44
	v_fma_f32 v71, -0.5, v48, v40
	v_sub_f32_e32 v48, v36, v44
	v_sub_f32_e32 v49, v32, v0
	v_add_f32_e32 v80, v49, v48
	v_add_f32_e32 v48, v33, v37
	v_fma_f32 v75, -0.5, v48, v41
	v_sub_f32_e32 v48, v45, v37
	;; [unrolled: 5-line block ×3, first 2 shown]
	v_sub_f32_e32 v49, v33, v1
	v_add_f32_e32 v88, v49, v48
	v_sub_f32_e32 v49, v46, v38
	v_sub_f32_e32 v50, v2, v34
	v_add_f32_e32 v93, v50, v49
	v_sub_f32_e32 v50, v38, v46
	;; [unrolled: 3-line block ×3, first 2 shown]
	v_sub_f32_e32 v77, v3, v35
	v_add_f32_e32 v50, v35, v39
	v_add_f32_e32 v97, v77, v51
	;; [unrolled: 1-line block ×5, first 2 shown]
	v_fma_f32 v92, -0.5, v50, v43
	v_fma_f32 v91, -0.5, v51, v43
	;; [unrolled: 1-line block ×4, first 2 shown]
	v_sub_f32_e32 v95, v46, v2
	v_mov_b32_e32 v50, v92
	v_sub_f32_e32 v96, v38, v34
	v_mov_b32_e32 v51, v91
	;; [unrolled: 2-line block ×4, first 2 shown]
	v_fmac_f32_e32 v50, 0x3f737871, v95
	v_fmac_f32_e32 v51, 0xbf737871, v96
	v_sub_f32_e32 v77, v39, v47
	v_sub_f32_e32 v79, v35, v3
	;; [unrolled: 1-line block ×3, first 2 shown]
	v_mov_b32_e32 v67, v69
	v_sub_f32_e32 v76, v37, v33
	v_mov_b32_e32 v68, v71
	v_sub_f32_e32 v81, v44, v0
	;; [unrolled: 2-line block ×3, first 2 shown]
	v_mov_b32_e32 v72, v74
	v_fmac_f32_e32 v48, 0xbf737871, v89
	v_fmac_f32_e32 v49, 0x3f737871, v90
	;; [unrolled: 1-line block ×4, first 2 shown]
	v_add_f32_e32 v98, v79, v77
	v_fmac_f32_e32 v67, 0xbf737871, v73
	v_fmac_f32_e32 v68, 0x3f737871, v76
	;; [unrolled: 1-line block ×14, first 2 shown]
	v_mul_f32_e32 v77, 0xbf167918, v50
	v_mul_f32_e32 v79, 0xbf737871, v51
	;; [unrolled: 1-line block ×4, first 2 shown]
	v_fmac_f32_e32 v67, 0x3e9e377a, v78
	v_fmac_f32_e32 v68, 0x3e9e377a, v80
	;; [unrolled: 1-line block ×8, first 2 shown]
	v_sub_f32_e32 v48, v67, v77
	v_sub_f32_e32 v50, v68, v79
	;; [unrolled: 1-line block ×4, first 2 shown]
	s_barrier
	s_and_saveexec_b64 s[8:9], s[0:1]
	s_cbranch_execz .LBB0_17
; %bb.16:
	v_add_f32_e32 v41, v45, v41
	v_add_f32_e32 v37, v37, v41
	;; [unrolled: 1-line block ×3, first 2 shown]
	v_mul_f32_e32 v100, 0x3f167918, v76
	v_mul_f32_e32 v101, 0x3f737871, v76
	;; [unrolled: 1-line block ×5, first 2 shown]
	v_add_f32_e32 v37, v1, v33
	v_add_f32_e32 v1, v47, v43
	v_mul_f32_e32 v81, 0x3f167918, v81
	v_mul_f32_e32 v105, 0x3f737871, v95
	v_sub_f32_e32 v75, v75, v76
	v_add_f32_e32 v74, v83, v74
	v_add_f32_e32 v1, v39, v1
	v_mul_f32_e32 v99, 0x3f737871, v73
	v_mul_f32_e32 v87, 0x3e9e377a, v87
	;; [unrolled: 1-line block ×7, first 2 shown]
	v_sub_f32_e32 v75, v75, v102
	v_sub_f32_e32 v76, v92, v105
	;; [unrolled: 1-line block ×3, first 2 shown]
	v_add_f32_e32 v1, v35, v1
	v_mul_f32_e32 v89, 0x3f167918, v89
	v_mul_f32_e32 v97, 0x3e9e377a, v97
	v_add_f32_e32 v87, v87, v75
	v_add_f32_e32 v75, v103, v86
	v_sub_f32_e32 v76, v76, v106
	v_add_f32_e32 v81, v88, v74
	v_sub_f32_e32 v74, v84, v90
	v_add_f32_e32 v41, v3, v1
	v_add_f32_e32 v1, v99, v69
	v_mul_f32_e32 v78, 0x3e9e377a, v78
	v_mul_f32_e32 v93, 0x3e9e377a, v93
	;; [unrolled: 1-line block ×4, first 2 shown]
	v_add_f32_e32 v75, v104, v75
	v_add_f32_e32 v86, v97, v76
	;; [unrolled: 1-line block ×4, first 2 shown]
	v_mul_f32_e32 v95, 0x3f167918, v95
	v_add_f32_e32 v75, v93, v75
	s_mov_b32 s10, 0xbf4f1bbd
	v_add_f32_e32 v83, v94, v74
	v_add_f32_e32 v74, v96, v91
	;; [unrolled: 1-line block ×3, first 2 shown]
	v_mul_f32_e32 v1, 0x3f167918, v86
	v_mul_f32_e32 v73, 0x3f167918, v73
	;; [unrolled: 1-line block ×3, first 2 shown]
	v_sub_f32_e32 v74, v74, v95
	v_fma_f32 v45, v75, s10, -v1
	v_sub_f32_e32 v1, v71, v101
	v_mul_f32_e32 v80, 0x3e9e377a, v80
	v_add_f32_e32 v84, v98, v74
	v_add_f32_e32 v1, v73, v1
	s_mov_b32 s11, 0xbe9e377a
	v_add_f32_e32 v47, v80, v1
	v_mul_f32_e32 v1, 0x3f737871, v84
	v_fma_f32 v69, v83, s11, -v1
	v_add_f32_e32 v1, v44, v40
	v_add_f32_e32 v1, v36, v1
	;; [unrolled: 1-line block ×7, first 2 shown]
	v_mul_f32_e32 v92, 0xbf4f1bbd, v86
	v_mul_f32_e32 v88, 0xbe9e377a, v84
	v_add_f32_e32 v40, v2, v0
	v_fmac_f32_e32 v92, 0x3f167918, v75
	v_fmac_f32_e32 v88, 0x3f737871, v83
	v_sub_f32_e32 v3, v37, v41
	v_sub_f32_e32 v2, v36, v40
	v_add_f32_e32 v39, v70, v82
	v_add_f32_e32 v37, v41, v37
	;; [unrolled: 1-line block ×4, first 2 shown]
	v_lshl_add_u32 v40, v60, 3, v58
	v_sub_f32_e32 v76, v87, v92
	v_sub_f32_e32 v74, v81, v88
	;; [unrolled: 1-line block ×4, first 2 shown]
	v_add_f32_e32 v1, v87, v92
	v_add_f32_e32 v35, v81, v88
	;; [unrolled: 1-line block ×6, first 2 shown]
	ds_write_b128 v40, v[36:39]
	ds_write_b128 v40, v[32:35] offset:16
	ds_write_b128 v40, v[0:3] offset:32
	;; [unrolled: 1-line block ×4, first 2 shown]
.LBB0_17:
	s_or_b64 exec, exec, s[8:9]
	v_add_u32_e32 v36, 0x400, v59
	s_waitcnt lgkmcnt(0)
	s_barrier
	ds_read2_b64 v[0:3], v36 offset0:112 offset1:232
	ds_read2_b64 v[32:35], v59 offset1:120
	v_add_u32_e32 v37, 0xc00, v59
	ds_read2_b64 v[37:40], v37 offset0:96 offset1:216
	s_waitcnt lgkmcnt(0)
	v_mul_f32_e32 v41, v9, v1
	v_fmac_f32_e32 v41, v8, v0
	v_mul_f32_e32 v0, v9, v0
	v_fma_f32 v8, v8, v1, -v0
	v_mul_f32_e32 v9, v11, v38
	v_mul_f32_e32 v0, v11, v37
	v_fmac_f32_e32 v9, v10, v37
	v_fma_f32 v10, v10, v38, -v0
	v_mul_f32_e32 v0, v5, v2
	v_mul_f32_e32 v11, v5, v3
	v_fma_f32 v37, v4, v3, -v0
	v_mul_f32_e32 v38, v7, v40
	v_add_f32_e32 v3, v8, v10
	v_fmac_f32_e32 v11, v4, v2
	v_fmac_f32_e32 v38, v6, v39
	v_mul_f32_e32 v0, v7, v39
	v_add_f32_e32 v1, v41, v9
	v_fma_f32 v5, -0.5, v3, v33
	v_fma_f32 v39, v6, v40, -v0
	v_fma_f32 v4, -0.5, v1, v32
	v_sub_f32_e32 v6, v41, v9
	v_mov_b32_e32 v3, v5
	v_add_f32_e32 v7, v11, v38
	v_sub_f32_e32 v1, v8, v10
	v_mov_b32_e32 v2, v4
	v_fmac_f32_e32 v3, 0x3f5db3d7, v6
	v_fmac_f32_e32 v5, 0xbf5db3d7, v6
	v_add_f32_e32 v6, v34, v11
	v_fma_f32 v34, -0.5, v7, v34
	v_add_f32_e32 v0, v32, v41
	v_fmac_f32_e32 v2, 0xbf5db3d7, v1
	v_fmac_f32_e32 v4, 0x3f5db3d7, v1
	v_add_f32_e32 v1, v33, v8
	v_sub_f32_e32 v7, v37, v39
	v_mov_b32_e32 v32, v34
	v_add_f32_e32 v8, v37, v39
	v_fmac_f32_e32 v32, 0xbf5db3d7, v7
	v_fmac_f32_e32 v34, 0x3f5db3d7, v7
	v_add_f32_e32 v7, v35, v37
	v_fmac_f32_e32 v35, -0.5, v8
	v_sub_f32_e32 v8, v11, v38
	v_mov_b32_e32 v33, v35
	v_add_f32_e32 v0, v0, v9
	v_add_f32_e32 v1, v1, v10
	;; [unrolled: 1-line block ×4, first 2 shown]
	v_fmac_f32_e32 v33, 0x3f5db3d7, v8
	v_fmac_f32_e32 v35, 0xbf5db3d7, v8
	s_barrier
	ds_write2_b64 v65, v[0:1], v[2:3] offset1:10
	ds_write_b64 v65, v[4:5] offset:160
	ds_write2_b64 v64, v[6:7], v[32:33] offset1:10
	ds_write_b64 v64, v[34:35] offset:160
	s_waitcnt lgkmcnt(0)
	s_barrier
	s_and_saveexec_b64 s[8:9], s[2:3]
	s_cbranch_execz .LBB0_19
; %bb.18:
	v_add_u32_e32 v8, 0x800, v59
	ds_read2_b64 v[0:3], v59 offset1:90
	ds_read2_b64 v[4:7], v36 offset0:52 offset1:142
	ds_read2_b64 v[32:35], v8 offset0:104 offset1:194
	v_add_u32_e32 v8, 0x1000, v59
	ds_read2_b64 v[48:51], v8 offset0:28 offset1:118
.LBB0_19:
	s_or_b64 exec, exec, s[8:9]
	v_add_u32_e32 v8, 0x3c0, v66
	s_waitcnt lgkmcnt(0)
	s_barrier
	s_and_saveexec_b64 s[8:9], s[2:3]
	s_cbranch_execz .LBB0_21
; %bb.20:
	v_mul_f32_e32 v9, v15, v32
	v_fma_f32 v9, v14, v33, -v9
	v_mul_f32_e32 v41, v13, v7
	v_sub_f32_e32 v11, v1, v9
	v_mul_f32_e32 v36, v23, v5
	v_mul_f32_e32 v9, v19, v49
	v_fmac_f32_e32 v41, v12, v6
	v_mul_f32_e32 v6, v13, v6
	v_fmac_f32_e32 v36, v22, v4
	v_fmac_f32_e32 v9, v18, v48
	v_fma_f32 v6, v12, v7, -v6
	v_mul_f32_e32 v12, v21, v3
	v_sub_f32_e32 v37, v36, v9
	v_mul_f32_e32 v9, v21, v2
	v_fmac_f32_e32 v12, v20, v2
	v_mul_f32_e32 v2, v17, v35
	v_fmac_f32_e32 v2, v16, v34
	v_sub_f32_e32 v13, v12, v2
	v_mul_f32_e32 v2, v23, v4
	v_fma_f32 v4, v22, v5, -v2
	v_mul_f32_e32 v2, v19, v48
	v_fma_f32 v39, v20, v3, -v9
	;; [unrolled: 2-line block ×3, first 2 shown]
	v_fma_f32 v9, v16, v35, -v9
	v_sub_f32_e32 v5, v4, v2
	v_mul_f32_e32 v2, v15, v33
	v_sub_f32_e32 v40, v39, v9
	v_mul_f32_e32 v9, v54, v51
	v_mul_f32_e32 v7, v54, v50
	v_fmac_f32_e32 v2, v14, v32
	v_fmac_f32_e32 v9, v53, v50
	v_fma_f32 v7, v53, v51, -v7
	v_sub_f32_e32 v14, v0, v2
	v_sub_f32_e32 v38, v11, v37
	;; [unrolled: 1-line block ×4, first 2 shown]
	v_fma_f32 v21, v0, 2.0, -v14
	v_fma_f32 v0, v36, 2.0, -v37
	v_sub_f32_e32 v43, v40, v42
	v_sub_f32_e32 v22, v21, v0
	v_fma_f32 v0, v6, 2.0, -v7
	v_fma_f32 v6, v11, 2.0, -v38
	v_add_f32_e32 v16, v7, v13
	v_fma_f32 v17, v1, 2.0, -v11
	v_fma_f32 v11, v40, 2.0, -v43
	v_mov_b32_e32 v7, v6
	v_add_f32_e32 v15, v5, v14
	v_fma_f32 v19, v12, 2.0, -v13
	v_fmac_f32_e32 v7, 0xbf3504f3, v11
	v_fma_f32 v13, v13, 2.0, -v16
	v_fmac_f32_e32 v7, 0xbf3504f3, v13
	v_fma_f32 v14, v14, 2.0, -v15
	v_fma_f32 v12, v6, 2.0, -v7
	v_mov_b32_e32 v6, v14
	v_fma_f32 v1, v4, 2.0, -v5
	v_fma_f32 v23, v39, 2.0, -v40
	v_fmac_f32_e32 v6, 0xbf3504f3, v13
	v_mov_b32_e32 v9, v15
	v_sub_f32_e32 v18, v17, v1
	v_sub_f32_e32 v32, v23, v0
	v_fmac_f32_e32 v6, 0x3f3504f3, v11
	v_mov_b32_e32 v10, v38
	v_fmac_f32_e32 v9, 0x3f3504f3, v16
	v_fma_f32 v1, v41, 2.0, -v42
	v_fma_f32 v11, v14, 2.0, -v6
	;; [unrolled: 1-line block ×4, first 2 shown]
	v_fmac_f32_e32 v10, 0x3f3504f3, v43
	v_fmac_f32_e32 v9, 0x3f3504f3, v43
	v_sub_f32_e32 v20, v19, v1
	v_sub_f32_e32 v14, v13, v14
	v_fmac_f32_e32 v10, 0xbf3504f3, v16
	v_fma_f32 v2, v15, 2.0, -v9
	v_fma_f32 v16, v13, 2.0, -v14
	;; [unrolled: 1-line block ×4, first 2 shown]
	v_mul_u32_u24_e32 v17, 0xf0, v61
	v_sub_f32_e32 v13, v15, v13
	v_add_u32_e32 v17, v17, v62
	v_sub_f32_e32 v1, v18, v20
	v_add_f32_e32 v0, v22, v32
	v_fma_f32 v15, v15, 2.0, -v13
	v_lshl_add_u32 v17, v17, 3, v58
	v_fma_f32 v3, v38, 2.0, -v10
	v_fma_f32 v5, v18, 2.0, -v1
	;; [unrolled: 1-line block ×3, first 2 shown]
	ds_write2_b64 v17, v[15:16], v[11:12] offset1:30
	ds_write2_b64 v17, v[4:5], v[2:3] offset0:60 offset1:90
	ds_write2_b64 v17, v[13:14], v[6:7] offset0:120 offset1:150
	;; [unrolled: 1-line block ×3, first 2 shown]
.LBB0_21:
	s_or_b64 exec, exec, s[8:9]
	v_add_u32_e32 v0, 0x400, v59
	v_add_u32_e32 v9, 0xc00, v59
	s_waitcnt lgkmcnt(0)
	s_barrier
	ds_read2_b64 v[0:3], v0 offset0:112 offset1:232
	ds_read2_b64 v[4:7], v59 offset1:120
	ds_read2_b64 v[9:12], v9 offset0:96 offset1:216
	s_waitcnt lgkmcnt(2)
	v_mul_f32_e32 v13, v25, v1
	v_fmac_f32_e32 v13, v24, v0
	v_mul_f32_e32 v0, v25, v0
	s_waitcnt lgkmcnt(0)
	v_mul_f32_e32 v15, v27, v10
	v_fma_f32 v14, v24, v1, -v0
	v_fmac_f32_e32 v15, v26, v9
	v_mul_f32_e32 v0, v27, v9
	v_fma_f32 v9, v26, v10, -v0
	v_mul_f32_e32 v16, v29, v3
	v_mul_f32_e32 v0, v29, v2
	v_add_f32_e32 v1, v13, v15
	v_fmac_f32_e32 v16, v28, v2
	v_fma_f32 v17, v28, v3, -v0
	v_mul_f32_e32 v0, v31, v11
	v_fma_f32 v2, -0.5, v1, v4
	v_mul_f32_e32 v18, v31, v12
	v_fma_f32 v12, v30, v12, -v0
	v_add_f32_e32 v0, v4, v13
	v_sub_f32_e32 v1, v14, v9
	v_mov_b32_e32 v4, v2
	v_add_f32_e32 v3, v14, v9
	v_fmac_f32_e32 v18, v30, v11
	v_fmac_f32_e32 v4, 0xbf5db3d7, v1
	;; [unrolled: 1-line block ×3, first 2 shown]
	v_add_f32_e32 v1, v5, v14
	v_fma_f32 v3, -0.5, v3, v5
	v_add_f32_e32 v1, v1, v9
	v_sub_f32_e32 v9, v13, v15
	v_mov_b32_e32 v5, v3
	v_add_f32_e32 v10, v16, v18
	v_fmac_f32_e32 v5, 0x3f5db3d7, v9
	v_fmac_f32_e32 v3, 0xbf5db3d7, v9
	v_add_f32_e32 v9, v6, v16
	v_fma_f32 v6, -0.5, v10, v6
	v_sub_f32_e32 v10, v17, v12
	v_mov_b32_e32 v11, v6
	v_fmac_f32_e32 v11, 0xbf5db3d7, v10
	v_fmac_f32_e32 v6, 0x3f5db3d7, v10
	v_add_f32_e32 v10, v7, v17
	v_add_f32_e32 v10, v10, v12
	;; [unrolled: 1-line block ×3, first 2 shown]
	v_fmac_f32_e32 v7, -0.5, v12
	v_sub_f32_e32 v13, v16, v18
	v_mov_b32_e32 v12, v7
	v_add_f32_e32 v0, v0, v15
	v_fmac_f32_e32 v12, 0x3f5db3d7, v13
	v_fmac_f32_e32 v7, 0xbf5db3d7, v13
	v_add_u32_e32 v13, 0x780, v63
	v_add_f32_e32 v9, v9, v18
	ds_write2_b64 v13, v[4:5], v[2:3] offset1:240
	ds_write2_b64 v63, v[0:1], v[9:10] offset1:120
	v_add_u32_e32 v0, 0x780, v8
	ds_write2_b64 v0, v[11:12], v[6:7] offset1:240
	s_waitcnt lgkmcnt(0)
	s_barrier
	s_and_b64 exec, exec, s[0:1]
	s_cbranch_execz .LBB0_23
; %bb.22:
	global_load_dwordx2 v[8:9], v56, s[14:15]
	global_load_dwordx2 v[10:11], v56, s[14:15] offset:576
	global_load_dwordx2 v[12:13], v56, s[14:15] offset:1152
	;; [unrolled: 1-line block ×7, first 2 shown]
	v_mad_u64_u32 v[16:17], s[0:1], s6, v52, 0
	v_mad_u64_u32 v[18:19], s[2:3], s4, v55, 0
	v_mov_b32_e32 v0, s15
	v_add_co_u32_e32 v32, vcc, s14, v56
	s_mul_i32 s3, s5, 0x240
	s_mul_hi_u32 s6, s4, 0x240
	s_mul_i32 s2, s4, 0x240
	s_movk_i32 s4, 0x1000
	v_addc_co_u32_e32 v33, vcc, 0, v0, vcc
	v_lshl_add_u32 v41, v57, 3, v56
	s_add_i32 s3, s6, s3
	v_add_co_u32_e32 v32, vcc, s4, v32
	v_mad_u64_u32 v[34:35], s[6:7], s7, v52, v[17:18]
	ds_read2_b64 v[0:3], v41 offset0:72 offset1:144
	v_add_u32_e32 v4, 0x400, v41
	ds_read_b64 v[28:29], v63
	ds_read_b64 v[30:31], v41 offset:5184
	v_addc_co_u32_e32 v33, vcc, 0, v33, vcc
	ds_read2_b64 v[4:7], v4 offset0:88 offset1:160
	v_mov_b32_e32 v17, v34
	s_mov_b32 s0, 0x16c16c17
	s_mov_b32 s1, 0x3f56c16c
	v_lshlrev_b64 v[16:17], 3, v[16:17]
	v_mov_b32_e32 v40, s13
	v_add_co_u32_e32 v16, vcc, s12, v16
	v_addc_co_u32_e32 v17, vcc, v40, v17, vcc
	v_mov_b32_e32 v42, s3
	s_waitcnt vmcnt(3)
	v_mad_u64_u32 v[35:36], s[4:5], s5, v55, v[19:20]
	global_load_dwordx2 v[36:37], v[32:33], off offset:512
	global_load_dwordx2 v[38:39], v[32:33], off offset:1088
	s_waitcnt lgkmcnt(2)
	v_mul_f32_e32 v32, v29, v9
	v_mul_f32_e32 v9, v28, v9
	;; [unrolled: 1-line block ×6, first 2 shown]
	v_fmac_f32_e32 v32, v28, v8
	v_fma_f32 v8, v8, v29, -v9
	v_mov_b32_e32 v19, v35
	s_waitcnt lgkmcnt(0)
	v_mul_f32_e32 v35, v5, v15
	v_mul_f32_e32 v15, v4, v15
	v_fmac_f32_e32 v33, v0, v10
	v_fma_f32 v9, v10, v1, -v11
	v_fmac_f32_e32 v34, v2, v12
	v_fma_f32 v12, v12, v3, -v13
	v_cvt_f64_f32_e32 v[0:1], v32
	v_cvt_f64_f32_e32 v[2:3], v8
	v_fmac_f32_e32 v35, v4, v14
	v_fma_f32 v28, v14, v5, -v15
	v_cvt_f64_f32_e32 v[4:5], v33
	v_cvt_f64_f32_e32 v[8:9], v9
	v_mul_f64 v[0:1], v[0:1], s[0:1]
	v_mul_f64 v[2:3], v[2:3], s[0:1]
	;; [unrolled: 1-line block ×4, first 2 shown]
	v_cvt_f64_f32_e32 v[10:11], v34
	v_cvt_f64_f32_e32 v[12:13], v12
	v_lshlrev_b64 v[18:19], 3, v[18:19]
	v_cvt_f64_f32_e32 v[28:29], v28
	v_mul_f64 v[10:11], v[10:11], s[0:1]
	v_mul_f64 v[12:13], v[12:13], s[0:1]
	v_cvt_f32_f64_e32 v0, v[0:1]
	v_cvt_f32_f64_e32 v1, v[2:3]
	v_add_co_u32_e32 v16, vcc, v16, v18
	v_cvt_f32_f64_e32 v2, v[4:5]
	v_cvt_f32_f64_e32 v3, v[8:9]
	v_addc_co_u32_e32 v17, vcc, v17, v19, vcc
	v_add_co_u32_e32 v18, vcc, s2, v16
	v_addc_co_u32_e32 v19, vcc, v17, v42, vcc
	global_store_dwordx2 v[16:17], v[0:1], off
	global_store_dwordx2 v[18:19], v[2:3], off
	v_mul_f64 v[0:1], v[28:29], s[0:1]
	v_cvt_f64_f32_e32 v[14:15], v35
	v_cvt_f32_f64_e32 v4, v[10:11]
	v_cvt_f32_f64_e32 v5, v[12:13]
	v_mov_b32_e32 v2, s3
	v_mul_f64 v[14:15], v[14:15], s[0:1]
	v_add_co_u32_e32 v8, vcc, s2, v18
	v_addc_co_u32_e32 v9, vcc, v19, v2, vcc
	global_store_dwordx2 v[8:9], v[4:5], off
	v_cvt_f32_f64_e32 v5, v[0:1]
	v_mul_f32_e32 v0, v7, v21
	v_fmac_f32_e32 v0, v6, v20
	v_cvt_f64_f32_e32 v[10:11], v0
	v_mul_f32_e32 v0, v6, v21
	v_fma_f32 v0, v20, v7, -v0
	v_cvt_f64_f32_e32 v[6:7], v0
	v_add_u32_e32 v0, 0x800, v41
	ds_read2_b64 v[0:3], v0 offset0:104 offset1:176
	v_cvt_f32_f64_e32 v4, v[14:15]
	v_mov_b32_e32 v12, s3
	v_add_co_u32_e32 v8, vcc, s2, v8
	v_addc_co_u32_e32 v9, vcc, v9, v12, vcc
	global_store_dwordx2 v[8:9], v[4:5], off
	v_mul_f64 v[4:5], v[10:11], s[0:1]
	s_waitcnt vmcnt(8) lgkmcnt(0)
	v_mul_f32_e32 v10, v1, v23
	v_mul_f64 v[6:7], v[6:7], s[0:1]
	v_fmac_f32_e32 v10, v0, v22
	v_mul_f32_e32 v0, v0, v23
	v_fma_f32 v0, v22, v1, -v0
	v_cvt_f64_f32_e32 v[0:1], v0
	v_cvt_f64_f32_e32 v[10:11], v10
	v_cvt_f32_f64_e32 v4, v[4:5]
	v_add_co_u32_e32 v8, vcc, s2, v8
	v_mul_f64 v[0:1], v[0:1], s[0:1]
	v_cvt_f32_f64_e32 v5, v[6:7]
	v_mul_f64 v[6:7], v[10:11], s[0:1]
	v_mov_b32_e32 v10, s3
	v_addc_co_u32_e32 v9, vcc, v9, v10, vcc
	global_store_dwordx2 v[8:9], v[4:5], off
	v_add_co_u32_e32 v8, vcc, s2, v8
	v_cvt_f32_f64_e32 v5, v[0:1]
	s_waitcnt vmcnt(8)
	v_mul_f32_e32 v0, v3, v25
	v_fmac_f32_e32 v0, v2, v24
	v_cvt_f32_f64_e32 v4, v[6:7]
	v_cvt_f64_f32_e32 v[6:7], v0
	v_mul_f32_e32 v0, v2, v25
	v_fma_f32 v0, v24, v3, -v0
	v_cvt_f64_f32_e32 v[10:11], v0
	v_add_u32_e32 v0, 0xc00, v41
	ds_read2_b64 v[0:3], v0 offset0:120 offset1:192
	v_addc_co_u32_e32 v9, vcc, v9, v12, vcc
	global_store_dwordx2 v[8:9], v[4:5], off
	v_mul_f64 v[4:5], v[6:7], s[0:1]
	v_mul_f64 v[6:7], v[10:11], s[0:1]
	s_waitcnt vmcnt(8) lgkmcnt(0)
	v_mul_f32_e32 v10, v1, v27
	v_fmac_f32_e32 v10, v0, v26
	v_mul_f32_e32 v0, v0, v27
	v_fma_f32 v0, v26, v1, -v0
	v_cvt_f64_f32_e32 v[0:1], v0
	v_cvt_f64_f32_e32 v[10:11], v10
	v_cvt_f32_f64_e32 v4, v[4:5]
	v_cvt_f32_f64_e32 v5, v[6:7]
	v_mul_f64 v[0:1], v[0:1], s[0:1]
	v_mul_f64 v[6:7], v[10:11], s[0:1]
	v_mov_b32_e32 v10, s3
	v_add_co_u32_e32 v8, vcc, s2, v8
	v_addc_co_u32_e32 v9, vcc, v9, v10, vcc
	global_store_dwordx2 v[8:9], v[4:5], off
	v_cvt_f32_f64_e32 v5, v[0:1]
	s_waitcnt vmcnt(8)
	v_mul_f32_e32 v0, v3, v37
	v_fmac_f32_e32 v0, v2, v36
	v_mul_f32_e32 v2, v2, v37
	v_fma_f32 v2, v36, v3, -v2
	v_cvt_f64_f32_e32 v[0:1], v0
	v_cvt_f64_f32_e32 v[2:3], v2
	v_cvt_f32_f64_e32 v4, v[6:7]
	v_mov_b32_e32 v7, s3
	v_add_co_u32_e32 v6, vcc, s2, v8
	v_mul_f64 v[0:1], v[0:1], s[0:1]
	v_mul_f64 v[2:3], v[2:3], s[0:1]
	v_addc_co_u32_e32 v7, vcc, v9, v7, vcc
	global_store_dwordx2 v[6:7], v[4:5], off
	s_waitcnt vmcnt(8)
	v_mul_f32_e32 v4, v31, v39
	v_mul_f32_e32 v8, v30, v39
	v_fmac_f32_e32 v4, v30, v38
	v_fma_f32 v8, v38, v31, -v8
	v_cvt_f64_f32_e32 v[4:5], v4
	v_cvt_f64_f32_e32 v[8:9], v8
	v_cvt_f32_f64_e32 v0, v[0:1]
	v_cvt_f32_f64_e32 v1, v[2:3]
	v_mul_f64 v[2:3], v[4:5], s[0:1]
	v_mul_f64 v[4:5], v[8:9], s[0:1]
	v_mov_b32_e32 v8, s3
	v_add_co_u32_e32 v6, vcc, s2, v6
	v_addc_co_u32_e32 v7, vcc, v7, v8, vcc
	global_store_dwordx2 v[6:7], v[0:1], off
	v_cvt_f32_f64_e32 v0, v[2:3]
	v_cvt_f32_f64_e32 v1, v[4:5]
	v_mov_b32_e32 v3, s3
	v_add_co_u32_e32 v2, vcc, s2, v6
	v_addc_co_u32_e32 v3, vcc, v7, v3, vcc
	global_store_dwordx2 v[2:3], v[0:1], off
.LBB0_23:
	s_endpgm
	.section	.rodata,"a",@progbits
	.p2align	6, 0x0
	.amdhsa_kernel bluestein_single_back_len720_dim1_sp_op_CI_CI
		.amdhsa_group_segment_fixed_size 11520
		.amdhsa_private_segment_fixed_size 0
		.amdhsa_kernarg_size 104
		.amdhsa_user_sgpr_count 6
		.amdhsa_user_sgpr_private_segment_buffer 1
		.amdhsa_user_sgpr_dispatch_ptr 0
		.amdhsa_user_sgpr_queue_ptr 0
		.amdhsa_user_sgpr_kernarg_segment_ptr 1
		.amdhsa_user_sgpr_dispatch_id 0
		.amdhsa_user_sgpr_flat_scratch_init 0
		.amdhsa_user_sgpr_private_segment_size 0
		.amdhsa_uses_dynamic_stack 0
		.amdhsa_system_sgpr_private_segment_wavefront_offset 0
		.amdhsa_system_sgpr_workgroup_id_x 1
		.amdhsa_system_sgpr_workgroup_id_y 0
		.amdhsa_system_sgpr_workgroup_id_z 0
		.amdhsa_system_sgpr_workgroup_info 0
		.amdhsa_system_vgpr_workitem_id 0
		.amdhsa_next_free_vgpr 107
		.amdhsa_next_free_sgpr 18
		.amdhsa_reserve_vcc 1
		.amdhsa_reserve_flat_scratch 0
		.amdhsa_float_round_mode_32 0
		.amdhsa_float_round_mode_16_64 0
		.amdhsa_float_denorm_mode_32 3
		.amdhsa_float_denorm_mode_16_64 3
		.amdhsa_dx10_clamp 1
		.amdhsa_ieee_mode 1
		.amdhsa_fp16_overflow 0
		.amdhsa_exception_fp_ieee_invalid_op 0
		.amdhsa_exception_fp_denorm_src 0
		.amdhsa_exception_fp_ieee_div_zero 0
		.amdhsa_exception_fp_ieee_overflow 0
		.amdhsa_exception_fp_ieee_underflow 0
		.amdhsa_exception_fp_ieee_inexact 0
		.amdhsa_exception_int_div_zero 0
	.end_amdhsa_kernel
	.text
.Lfunc_end0:
	.size	bluestein_single_back_len720_dim1_sp_op_CI_CI, .Lfunc_end0-bluestein_single_back_len720_dim1_sp_op_CI_CI
                                        ; -- End function
	.section	.AMDGPU.csdata,"",@progbits
; Kernel info:
; codeLenInByte = 7652
; NumSgprs: 22
; NumVgprs: 107
; ScratchSize: 0
; MemoryBound: 0
; FloatMode: 240
; IeeeMode: 1
; LDSByteSize: 11520 bytes/workgroup (compile time only)
; SGPRBlocks: 2
; VGPRBlocks: 26
; NumSGPRsForWavesPerEU: 22
; NumVGPRsForWavesPerEU: 107
; Occupancy: 2
; WaveLimiterHint : 1
; COMPUTE_PGM_RSRC2:SCRATCH_EN: 0
; COMPUTE_PGM_RSRC2:USER_SGPR: 6
; COMPUTE_PGM_RSRC2:TRAP_HANDLER: 0
; COMPUTE_PGM_RSRC2:TGID_X_EN: 1
; COMPUTE_PGM_RSRC2:TGID_Y_EN: 0
; COMPUTE_PGM_RSRC2:TGID_Z_EN: 0
; COMPUTE_PGM_RSRC2:TIDIG_COMP_CNT: 0
	.type	__hip_cuid_2ef85c11b8549e15,@object ; @__hip_cuid_2ef85c11b8549e15
	.section	.bss,"aw",@nobits
	.globl	__hip_cuid_2ef85c11b8549e15
__hip_cuid_2ef85c11b8549e15:
	.byte	0                               ; 0x0
	.size	__hip_cuid_2ef85c11b8549e15, 1

	.ident	"AMD clang version 19.0.0git (https://github.com/RadeonOpenCompute/llvm-project roc-6.4.0 25133 c7fe45cf4b819c5991fe208aaa96edf142730f1d)"
	.section	".note.GNU-stack","",@progbits
	.addrsig
	.addrsig_sym __hip_cuid_2ef85c11b8549e15
	.amdgpu_metadata
---
amdhsa.kernels:
  - .args:
      - .actual_access:  read_only
        .address_space:  global
        .offset:         0
        .size:           8
        .value_kind:     global_buffer
      - .actual_access:  read_only
        .address_space:  global
        .offset:         8
        .size:           8
        .value_kind:     global_buffer
      - .actual_access:  read_only
        .address_space:  global
        .offset:         16
        .size:           8
        .value_kind:     global_buffer
      - .actual_access:  read_only
        .address_space:  global
        .offset:         24
        .size:           8
        .value_kind:     global_buffer
      - .actual_access:  read_only
        .address_space:  global
        .offset:         32
        .size:           8
        .value_kind:     global_buffer
      - .offset:         40
        .size:           8
        .value_kind:     by_value
      - .address_space:  global
        .offset:         48
        .size:           8
        .value_kind:     global_buffer
      - .address_space:  global
        .offset:         56
        .size:           8
        .value_kind:     global_buffer
      - .address_space:  global
        .offset:         64
        .size:           8
        .value_kind:     global_buffer
      - .address_space:  global
        .offset:         72
        .size:           8
        .value_kind:     global_buffer
      - .offset:         80
        .size:           4
        .value_kind:     by_value
      - .address_space:  global
        .offset:         88
        .size:           8
        .value_kind:     global_buffer
      - .address_space:  global
        .offset:         96
        .size:           8
        .value_kind:     global_buffer
    .group_segment_fixed_size: 11520
    .kernarg_segment_align: 8
    .kernarg_segment_size: 104
    .language:       OpenCL C
    .language_version:
      - 2
      - 0
    .max_flat_workgroup_size: 240
    .name:           bluestein_single_back_len720_dim1_sp_op_CI_CI
    .private_segment_fixed_size: 0
    .sgpr_count:     22
    .sgpr_spill_count: 0
    .symbol:         bluestein_single_back_len720_dim1_sp_op_CI_CI.kd
    .uniform_work_group_size: 1
    .uses_dynamic_stack: false
    .vgpr_count:     107
    .vgpr_spill_count: 0
    .wavefront_size: 64
amdhsa.target:   amdgcn-amd-amdhsa--gfx906
amdhsa.version:
  - 1
  - 2
...

	.end_amdgpu_metadata
